;; amdgpu-corpus repo=ROCm/rocFFT kind=compiled arch=gfx950 opt=O3
	.text
	.amdgcn_target "amdgcn-amd-amdhsa--gfx950"
	.amdhsa_code_object_version 6
	.protected	fft_rtc_fwd_len728_factors_13_7_8_wgs_104_tpt_104_halfLds_dp_ip_CI_unitstride_sbrr_C2R_dirReg ; -- Begin function fft_rtc_fwd_len728_factors_13_7_8_wgs_104_tpt_104_halfLds_dp_ip_CI_unitstride_sbrr_C2R_dirReg
	.globl	fft_rtc_fwd_len728_factors_13_7_8_wgs_104_tpt_104_halfLds_dp_ip_CI_unitstride_sbrr_C2R_dirReg
	.p2align	8
	.type	fft_rtc_fwd_len728_factors_13_7_8_wgs_104_tpt_104_halfLds_dp_ip_CI_unitstride_sbrr_C2R_dirReg,@function
fft_rtc_fwd_len728_factors_13_7_8_wgs_104_tpt_104_halfLds_dp_ip_CI_unitstride_sbrr_C2R_dirReg: ; @fft_rtc_fwd_len728_factors_13_7_8_wgs_104_tpt_104_halfLds_dp_ip_CI_unitstride_sbrr_C2R_dirReg
; %bb.0:
	s_load_dwordx2 s[8:9], s[0:1], 0x50
	s_load_dwordx4 s[4:7], s[0:1], 0x0
	s_load_dwordx2 s[10:11], s[0:1], 0x18
	v_mul_u32_u24_e32 v1, 0x277, v0
	v_add_u32_sdwa v6, s2, v1 dst_sel:DWORD dst_unused:UNUSED_PAD src0_sel:DWORD src1_sel:WORD_1
	v_mov_b32_e32 v4, 0
	s_waitcnt lgkmcnt(0)
	v_cmp_lt_u64_e64 s[2:3], s[6:7], 2
	v_mov_b32_e32 v7, v4
	s_and_b64 vcc, exec, s[2:3]
	v_mov_b64_e32 v[2:3], 0
	s_cbranch_vccnz .LBB0_8
; %bb.1:
	s_load_dwordx2 s[2:3], s[0:1], 0x10
	s_add_u32 s12, s10, 8
	s_addc_u32 s13, s11, 0
	s_mov_b64 s[14:15], 1
	v_mov_b64_e32 v[2:3], 0
	s_waitcnt lgkmcnt(0)
	s_add_u32 s16, s2, 8
	s_addc_u32 s17, s3, 0
.LBB0_2:                                ; =>This Inner Loop Header: Depth=1
	s_load_dwordx2 s[18:19], s[16:17], 0x0
                                        ; implicit-def: $vgpr8_vgpr9
	s_waitcnt lgkmcnt(0)
	v_or_b32_e32 v5, s19, v7
	v_cmp_ne_u64_e32 vcc, 0, v[4:5]
	s_and_saveexec_b64 s[2:3], vcc
	s_xor_b64 s[20:21], exec, s[2:3]
	s_cbranch_execz .LBB0_4
; %bb.3:                                ;   in Loop: Header=BB0_2 Depth=1
	v_cvt_f32_u32_e32 v1, s18
	v_cvt_f32_u32_e32 v5, s19
	s_sub_u32 s2, 0, s18
	s_subb_u32 s3, 0, s19
	v_fmac_f32_e32 v1, 0x4f800000, v5
	v_rcp_f32_e32 v1, v1
	s_nop 0
	v_mul_f32_e32 v1, 0x5f7ffffc, v1
	v_mul_f32_e32 v5, 0x2f800000, v1
	v_trunc_f32_e32 v5, v5
	v_fmac_f32_e32 v1, 0xcf800000, v5
	v_cvt_u32_f32_e32 v5, v5
	v_cvt_u32_f32_e32 v1, v1
	v_mul_lo_u32 v8, s2, v5
	v_mul_hi_u32 v10, s2, v1
	v_mul_lo_u32 v9, s3, v1
	v_add_u32_e32 v10, v10, v8
	v_mul_lo_u32 v12, s2, v1
	v_add_u32_e32 v13, v10, v9
	v_mul_hi_u32 v8, v1, v12
	v_mul_hi_u32 v11, v1, v13
	v_mul_lo_u32 v10, v1, v13
	v_mov_b32_e32 v9, v4
	v_lshl_add_u64 v[8:9], v[8:9], 0, v[10:11]
	v_mul_hi_u32 v11, v5, v12
	v_mul_lo_u32 v12, v5, v12
	v_add_co_u32_e32 v8, vcc, v8, v12
	v_mul_hi_u32 v10, v5, v13
	s_nop 0
	v_addc_co_u32_e32 v8, vcc, v9, v11, vcc
	v_mov_b32_e32 v9, v4
	s_nop 0
	v_addc_co_u32_e32 v11, vcc, 0, v10, vcc
	v_mul_lo_u32 v10, v5, v13
	v_lshl_add_u64 v[8:9], v[8:9], 0, v[10:11]
	v_add_co_u32_e32 v1, vcc, v1, v8
	v_mul_lo_u32 v10, s2, v1
	s_nop 0
	v_addc_co_u32_e32 v5, vcc, v5, v9, vcc
	v_mul_lo_u32 v8, s2, v5
	v_mul_hi_u32 v9, s2, v1
	v_add_u32_e32 v8, v9, v8
	v_mul_lo_u32 v9, s3, v1
	v_add_u32_e32 v12, v8, v9
	v_mul_hi_u32 v14, v5, v10
	v_mul_lo_u32 v15, v5, v10
	v_mul_hi_u32 v9, v1, v12
	v_mul_lo_u32 v8, v1, v12
	v_mul_hi_u32 v10, v1, v10
	v_mov_b32_e32 v11, v4
	v_lshl_add_u64 v[8:9], v[10:11], 0, v[8:9]
	v_add_co_u32_e32 v8, vcc, v8, v15
	v_mul_hi_u32 v13, v5, v12
	s_nop 0
	v_addc_co_u32_e32 v8, vcc, v9, v14, vcc
	v_mul_lo_u32 v10, v5, v12
	s_nop 0
	v_addc_co_u32_e32 v11, vcc, 0, v13, vcc
	v_mov_b32_e32 v9, v4
	v_lshl_add_u64 v[8:9], v[8:9], 0, v[10:11]
	v_add_co_u32_e32 v1, vcc, v1, v8
	v_mul_hi_u32 v10, v6, v1
	s_nop 0
	v_addc_co_u32_e32 v5, vcc, v5, v9, vcc
	v_mad_u64_u32 v[8:9], s[2:3], v6, v5, 0
	v_mov_b32_e32 v11, v4
	v_lshl_add_u64 v[8:9], v[10:11], 0, v[8:9]
	v_mad_u64_u32 v[12:13], s[2:3], v7, v1, 0
	v_add_co_u32_e32 v1, vcc, v8, v12
	v_mad_u64_u32 v[10:11], s[2:3], v7, v5, 0
	s_nop 0
	v_addc_co_u32_e32 v8, vcc, v9, v13, vcc
	v_mov_b32_e32 v9, v4
	s_nop 0
	v_addc_co_u32_e32 v11, vcc, 0, v11, vcc
	v_lshl_add_u64 v[8:9], v[8:9], 0, v[10:11]
	v_mul_lo_u32 v1, s19, v8
	v_mul_lo_u32 v5, s18, v9
	v_mad_u64_u32 v[10:11], s[2:3], s18, v8, 0
	v_add3_u32 v1, v11, v5, v1
	v_sub_u32_e32 v5, v7, v1
	v_mov_b32_e32 v11, s19
	v_sub_co_u32_e32 v14, vcc, v6, v10
	v_lshl_add_u64 v[12:13], v[8:9], 0, 1
	s_nop 0
	v_subb_co_u32_e64 v5, s[2:3], v5, v11, vcc
	v_subrev_co_u32_e64 v10, s[2:3], s18, v14
	v_subb_co_u32_e32 v1, vcc, v7, v1, vcc
	s_nop 0
	v_subbrev_co_u32_e64 v5, s[2:3], 0, v5, s[2:3]
	v_cmp_le_u32_e64 s[2:3], s19, v5
	v_cmp_le_u32_e32 vcc, s19, v1
	s_nop 0
	v_cndmask_b32_e64 v11, 0, -1, s[2:3]
	v_cmp_le_u32_e64 s[2:3], s18, v10
	s_nop 1
	v_cndmask_b32_e64 v10, 0, -1, s[2:3]
	v_cmp_eq_u32_e64 s[2:3], s19, v5
	s_nop 1
	v_cndmask_b32_e64 v5, v11, v10, s[2:3]
	v_lshl_add_u64 v[10:11], v[8:9], 0, 2
	v_cmp_ne_u32_e64 s[2:3], 0, v5
	s_nop 1
	v_cndmask_b32_e64 v5, v13, v11, s[2:3]
	v_cndmask_b32_e64 v11, 0, -1, vcc
	v_cmp_le_u32_e32 vcc, s18, v14
	s_nop 1
	v_cndmask_b32_e64 v13, 0, -1, vcc
	v_cmp_eq_u32_e32 vcc, s19, v1
	s_nop 1
	v_cndmask_b32_e32 v1, v11, v13, vcc
	v_cmp_ne_u32_e32 vcc, 0, v1
	v_cndmask_b32_e64 v1, v12, v10, s[2:3]
	s_nop 0
	v_cndmask_b32_e32 v9, v9, v5, vcc
	v_cndmask_b32_e32 v8, v8, v1, vcc
.LBB0_4:                                ;   in Loop: Header=BB0_2 Depth=1
	s_andn2_saveexec_b64 s[2:3], s[20:21]
	s_cbranch_execz .LBB0_6
; %bb.5:                                ;   in Loop: Header=BB0_2 Depth=1
	v_cvt_f32_u32_e32 v1, s18
	s_sub_i32 s20, 0, s18
	v_rcp_iflag_f32_e32 v1, v1
	s_nop 0
	v_mul_f32_e32 v1, 0x4f7ffffe, v1
	v_cvt_u32_f32_e32 v1, v1
	v_mul_lo_u32 v5, s20, v1
	v_mul_hi_u32 v5, v1, v5
	v_add_u32_e32 v1, v1, v5
	v_mul_hi_u32 v1, v6, v1
	v_mul_lo_u32 v5, v1, s18
	v_sub_u32_e32 v5, v6, v5
	v_add_u32_e32 v8, 1, v1
	v_subrev_u32_e32 v9, s18, v5
	v_cmp_le_u32_e32 vcc, s18, v5
	s_nop 1
	v_cndmask_b32_e32 v5, v5, v9, vcc
	v_cndmask_b32_e32 v1, v1, v8, vcc
	v_add_u32_e32 v8, 1, v1
	v_cmp_le_u32_e32 vcc, s18, v5
	v_mov_b32_e32 v9, v4
	s_nop 0
	v_cndmask_b32_e32 v8, v1, v8, vcc
.LBB0_6:                                ;   in Loop: Header=BB0_2 Depth=1
	s_or_b64 exec, exec, s[2:3]
	v_mad_u64_u32 v[10:11], s[2:3], v8, s18, 0
	s_load_dwordx2 s[2:3], s[12:13], 0x0
	v_mul_lo_u32 v1, v9, s18
	v_mul_lo_u32 v5, v8, s19
	v_add3_u32 v1, v11, v5, v1
	v_sub_co_u32_e32 v5, vcc, v6, v10
	s_add_u32 s14, s14, 1
	s_nop 0
	v_subb_co_u32_e32 v1, vcc, v7, v1, vcc
	s_addc_u32 s15, s15, 0
	s_waitcnt lgkmcnt(0)
	v_mul_lo_u32 v1, s2, v1
	v_mul_lo_u32 v6, s3, v5
	v_mad_u64_u32 v[2:3], s[2:3], s2, v5, v[2:3]
	s_add_u32 s12, s12, 8
	v_add3_u32 v3, v6, v3, v1
	s_addc_u32 s13, s13, 0
	v_mov_b64_e32 v[6:7], s[6:7]
	s_add_u32 s16, s16, 8
	v_cmp_ge_u64_e32 vcc, s[14:15], v[6:7]
	s_addc_u32 s17, s17, 0
	s_cbranch_vccnz .LBB0_9
; %bb.7:                                ;   in Loop: Header=BB0_2 Depth=1
	v_mov_b64_e32 v[6:7], v[8:9]
	s_branch .LBB0_2
.LBB0_8:
	v_mov_b64_e32 v[8:9], v[6:7]
.LBB0_9:
	s_lshl_b64 s[2:3], s[6:7], 3
	s_add_u32 s2, s10, s2
	s_addc_u32 s3, s11, s3
	s_load_dwordx2 s[6:7], s[2:3], 0x0
	s_load_dwordx2 s[10:11], s[0:1], 0x20
	s_mov_b32 s2, 0x2762763
	s_waitcnt lgkmcnt(0)
	v_mul_lo_u32 v1, s6, v9
	v_mul_lo_u32 v4, s7, v8
	v_mad_u64_u32 v[2:3], s[0:1], s6, v8, v[2:3]
	v_add3_u32 v3, v4, v3, v1
	v_mul_hi_u32 v1, v0, s2
	v_mul_u32_u24_e32 v1, 0x68, v1
	v_cmp_gt_u64_e64 s[0:1], s[10:11], v[8:9]
	v_sub_u32_e32 v80, v0, v1
	v_lshl_add_u64 v[82:83], v[2:3], 4, s[8:9]
	s_and_saveexec_b64 s[2:3], s[0:1]
	s_cbranch_execz .LBB0_13
; %bb.10:
	v_mov_b32_e32 v81, 0
	v_lshl_add_u64 v[16:17], v[80:81], 4, v[82:83]
	v_add_co_u32_e32 v28, vcc, 0x1000, v16
	global_load_dwordx4 v[0:3], v[16:17], off
	global_load_dwordx4 v[4:7], v[16:17], off offset:1664
	v_addc_co_u32_e32 v29, vcc, 0, v17, vcc
	v_add_co_u32_e32 v30, vcc, 0x2000, v16
	global_load_dwordx4 v[8:11], v[16:17], off offset:3328
	global_load_dwordx4 v[12:15], v[28:29], off offset:896
	v_addc_co_u32_e32 v31, vcc, 0, v17, vcc
	global_load_dwordx4 v[16:19], v[28:29], off offset:2560
	global_load_dwordx4 v[20:23], v[30:31], off offset:128
	;; [unrolled: 1-line block ×3, first 2 shown]
	s_movk_i32 s6, 0x67
	v_lshl_add_u32 v28, v80, 4, 0
	v_cmp_eq_u32_e32 vcc, s6, v80
	s_waitcnt vmcnt(6)
	ds_write_b128 v28, v[0:3]
	s_waitcnt vmcnt(5)
	ds_write_b128 v28, v[4:7] offset:1664
	s_waitcnt vmcnt(4)
	ds_write_b128 v28, v[8:11] offset:3328
	;; [unrolled: 2-line block ×6, first 2 shown]
	s_and_saveexec_b64 s[6:7], vcc
	s_cbranch_execz .LBB0_12
; %bb.11:
	v_add_co_u32_e32 v0, vcc, 0x2000, v82
	v_mov_b32_e32 v80, 0x67
	s_nop 0
	v_addc_co_u32_e32 v1, vcc, 0, v83, vcc
	global_load_dwordx4 v[0:3], v[0:1], off offset:3456
	s_waitcnt vmcnt(0)
	ds_write_b128 v81, v[0:3] offset:11648
.LBB0_12:
	s_or_b64 exec, exec, s[6:7]
.LBB0_13:
	s_or_b64 exec, exec, s[2:3]
	v_lshlrev_b32_e32 v0, 4, v80
	v_add_u32_e32 v132, 0, v0
	s_waitcnt lgkmcnt(0)
	s_barrier
	v_sub_u32_e32 v10, 0, v0
	ds_read_b64 v[6:7], v132
	ds_read_b64 v[8:9], v10 offset:11648
	s_add_u32 s2, s4, 0x2cb0
	s_addc_u32 s3, s5, 0
	v_cmp_ne_u32_e32 vcc, 0, v80
                                        ; implicit-def: $vgpr4_vgpr5
	s_waitcnt lgkmcnt(0)
	v_add_f64 v[0:1], v[6:7], v[8:9]
	v_add_f64 v[2:3], v[6:7], -v[8:9]
	s_and_saveexec_b64 s[6:7], vcc
	s_xor_b64 s[6:7], exec, s[6:7]
	s_cbranch_execz .LBB0_15
; %bb.14:
	v_mov_b32_e32 v81, 0
	v_lshl_add_u64 v[0:1], v[80:81], 4, s[2:3]
	global_load_dwordx4 v[12:15], v[0:1], off
	ds_read_b64 v[0:1], v10 offset:11656
	ds_read_b64 v[2:3], v132 offset:8
	v_add_f64 v[4:5], v[6:7], v[8:9]
	v_add_f64 v[8:9], v[6:7], -v[8:9]
	s_waitcnt lgkmcnt(0)
	v_add_f64 v[16:17], v[0:1], v[2:3]
	v_add_f64 v[0:1], v[2:3], -v[0:1]
	s_waitcnt vmcnt(0)
	v_fma_f64 v[18:19], v[8:9], v[14:15], v[4:5]
	v_fma_f64 v[4:5], -v[8:9], v[14:15], v[4:5]
	v_fma_f64 v[6:7], v[16:17], v[14:15], -v[0:1]
	v_fma_f64 v[2:3], v[16:17], v[14:15], v[0:1]
	v_fmac_f64_e32 v[4:5], v[16:17], v[12:13]
	v_fmac_f64_e32 v[6:7], v[8:9], v[12:13]
	v_fma_f64 v[0:1], -v[16:17], v[12:13], v[18:19]
	v_fmac_f64_e32 v[2:3], v[8:9], v[12:13]
	ds_write_b128 v10, v[4:7] offset:11648
	v_mov_b64_e32 v[4:5], v[80:81]
.LBB0_15:
	s_andn2_saveexec_b64 s[6:7], s[6:7]
	s_cbranch_execz .LBB0_17
; %bb.16:
	v_mov_b32_e32 v8, 0
	ds_read_b128 v[4:7], v8 offset:5824
	s_waitcnt lgkmcnt(0)
	v_add_f64 v[4:5], v[4:5], v[4:5]
	v_mul_f64 v[6:7], v[6:7], -2.0
	ds_write_b128 v8, v[4:7] offset:5824
	v_mov_b64_e32 v[4:5], 0
.LBB0_17:
	s_or_b64 exec, exec, s[6:7]
	v_lshl_add_u64 v[4:5], v[4:5], 4, s[2:3]
	global_load_dwordx4 v[6:9], v[4:5], off offset:1664
	global_load_dwordx4 v[12:15], v[4:5], off offset:3328
	ds_write_b128 v132, v[0:3]
	ds_read_b128 v[0:3], v132 offset:1664
	ds_read_b128 v[16:19], v10 offset:9984
	v_cmp_gt_u32_e32 vcc, 52, v80
	s_waitcnt lgkmcnt(0)
	v_add_f64 v[20:21], v[0:1], v[16:17]
	v_add_f64 v[22:23], v[18:19], v[2:3]
	v_add_f64 v[24:25], v[0:1], -v[16:17]
	v_add_f64 v[0:1], v[2:3], -v[18:19]
	s_waitcnt vmcnt(1)
	v_fma_f64 v[26:27], v[24:25], v[8:9], v[20:21]
	v_fma_f64 v[2:3], v[22:23], v[8:9], v[0:1]
	v_fma_f64 v[16:17], -v[24:25], v[8:9], v[20:21]
	v_fma_f64 v[18:19], v[22:23], v[8:9], -v[0:1]
	v_fma_f64 v[0:1], -v[22:23], v[6:7], v[26:27]
	v_fmac_f64_e32 v[2:3], v[24:25], v[6:7]
	v_fmac_f64_e32 v[16:17], v[22:23], v[6:7]
	;; [unrolled: 1-line block ×3, first 2 shown]
	ds_write_b128 v132, v[0:3] offset:1664
	ds_write_b128 v10, v[16:19] offset:9984
	ds_read_b128 v[0:3], v132 offset:3328
	ds_read_b128 v[6:9], v10 offset:8320
	s_waitcnt lgkmcnt(0)
	v_add_f64 v[16:17], v[0:1], v[6:7]
	v_add_f64 v[18:19], v[8:9], v[2:3]
	v_add_f64 v[20:21], v[0:1], -v[6:7]
	v_add_f64 v[0:1], v[2:3], -v[8:9]
	s_waitcnt vmcnt(0)
	v_fma_f64 v[22:23], v[20:21], v[14:15], v[16:17]
	v_fma_f64 v[2:3], v[18:19], v[14:15], v[0:1]
	v_fma_f64 v[6:7], -v[20:21], v[14:15], v[16:17]
	v_fma_f64 v[8:9], v[18:19], v[14:15], -v[0:1]
	v_fma_f64 v[0:1], -v[18:19], v[12:13], v[22:23]
	v_fmac_f64_e32 v[2:3], v[20:21], v[12:13]
	v_fmac_f64_e32 v[6:7], v[18:19], v[12:13]
	v_fmac_f64_e32 v[8:9], v[20:21], v[12:13]
	ds_write_b128 v132, v[0:3] offset:3328
	ds_write_b128 v10, v[6:9] offset:8320
	s_and_saveexec_b64 s[2:3], vcc
	s_cbranch_execz .LBB0_19
; %bb.18:
	s_movk_i32 s6, 0x1000
	v_add_co_u32_e32 v0, vcc, s6, v4
	s_nop 1
	v_addc_co_u32_e32 v1, vcc, 0, v5, vcc
	global_load_dwordx4 v[0:3], v[0:1], off offset:896
	ds_read_b128 v[4:7], v132 offset:4992
	ds_read_b128 v[12:15], v10 offset:6656
	s_waitcnt lgkmcnt(0)
	v_add_f64 v[8:9], v[4:5], v[12:13]
	v_add_f64 v[16:17], v[14:15], v[6:7]
	v_add_f64 v[12:13], v[4:5], -v[12:13]
	v_add_f64 v[14:15], v[6:7], -v[14:15]
	s_waitcnt vmcnt(0)
	v_fma_f64 v[18:19], v[12:13], v[2:3], v[8:9]
	v_fma_f64 v[4:5], v[16:17], v[2:3], v[14:15]
	v_fma_f64 v[6:7], -v[12:13], v[2:3], v[8:9]
	v_fma_f64 v[8:9], v[16:17], v[2:3], -v[14:15]
	v_fma_f64 v[2:3], -v[16:17], v[0:1], v[18:19]
	v_fmac_f64_e32 v[4:5], v[12:13], v[0:1]
	v_fmac_f64_e32 v[6:7], v[16:17], v[0:1]
	;; [unrolled: 1-line block ×3, first 2 shown]
	ds_write_b128 v132, v[2:5] offset:4992
	ds_write_b128 v10, v[6:9] offset:6656
.LBB0_19:
	s_or_b64 exec, exec, s[2:3]
	s_waitcnt lgkmcnt(0)
	s_barrier
	s_barrier
	ds_read_b128 v[4:7], v132 offset:10752
	ds_read_b128 v[8:11], v132 offset:896
	ds_read_b128 v[12:15], v132
	ds_read_b128 v[16:19], v132 offset:1792
	ds_read_b128 v[20:23], v132 offset:2688
	;; [unrolled: 1-line block ×4, first 2 shown]
	s_mov_b32 s6, 0x4bc48dbf
	s_waitcnt lgkmcnt(5)
	v_add_f64 v[88:89], v[10:11], -v[6:7]
	s_mov_b32 s2, 0x93053d00
	s_mov_b32 s7, 0xbfcea1e5
	;; [unrolled: 1-line block ×3, first 2 shown]
	v_add_f64 v[84:85], v[8:9], v[4:5]
	v_add_f64 v[86:87], v[8:9], -v[4:5]
	s_mov_b32 s3, 0xbfef11f4
	v_mul_f64 v[56:57], v[88:89], s[6:7]
	s_waitcnt lgkmcnt(1)
	v_add_f64 v[98:99], v[18:19], -v[26:27]
	s_mov_b32 s8, 0xe00740e9
	s_mov_b32 s19, 0x3fddbe06
	v_add_f64 v[92:93], v[10:11], v[6:7]
	v_mul_f64 v[58:59], v[86:87], s[6:7]
	v_fma_f64 v[0:1], s[2:3], v[84:85], v[56:57]
	v_add_f64 v[90:91], v[16:17], v[24:25]
	v_add_f64 v[94:95], v[16:17], -v[24:25]
	s_mov_b32 s9, 0x3fec55a7
	v_mul_f64 v[60:61], v[98:99], s[18:19]
	s_mov_b32 s14, 0x24c2f84
	v_add_f64 v[0:1], v[12:13], v[0:1]
	v_fma_f64 v[2:3], v[92:93], s[2:3], -v[58:59]
	v_add_f64 v[102:103], v[18:19], v[26:27]
	v_mul_f64 v[62:63], v[94:95], s[18:19]
	v_fma_f64 v[32:33], s[8:9], v[90:91], v[60:61]
	s_mov_b32 s10, 0xd0032e0c
	s_mov_b32 s15, 0xbfe5384d
	s_waitcnt lgkmcnt(0)
	v_add_f64 v[104:105], v[22:23], -v[30:31]
	v_add_f64 v[2:3], v[14:15], v[2:3]
	v_add_f64 v[0:1], v[32:33], v[0:1]
	v_fma_f64 v[32:33], v[102:103], s[8:9], -v[62:63]
	s_mov_b32 s11, 0xbfe7f3cc
	v_add_f64 v[96:97], v[20:21], v[28:29]
	v_mul_f64 v[64:65], v[104:105], s[14:15]
	v_add_f64 v[100:101], v[20:21], -v[28:29]
	v_add_f64 v[2:3], v[32:33], v[2:3]
	v_fma_f64 v[32:33], s[10:11], v[96:97], v[64:65]
	v_add_f64 v[108:109], v[22:23], v[30:31]
	v_mul_f64 v[66:67], v[100:101], s[14:15]
	v_add_f64 v[0:1], v[32:33], v[0:1]
	v_fma_f64 v[32:33], v[108:109], s[10:11], -v[66:67]
	v_add_f64 v[2:3], v[32:33], v[2:3]
	ds_read_b128 v[32:35], v132 offset:8064
	ds_read_b128 v[36:39], v132 offset:3584
	;; [unrolled: 1-line block ×4, first 2 shown]
	s_mov_b32 s22, 0x42a4c3d2
	s_mov_b32 s16, 0x1ea71119
	;; [unrolled: 1-line block ×3, first 2 shown]
	s_waitcnt lgkmcnt(2)
	v_add_f64 v[114:115], v[38:39], -v[34:35]
	s_mov_b32 s17, 0x3fe22d96
	v_add_f64 v[106:107], v[36:37], v[32:33]
	v_mul_f64 v[68:69], v[114:115], s[22:23]
	v_add_f64 v[112:113], v[36:37], -v[32:33]
	s_mov_b32 s24, 0x2ef20147
	v_fma_f64 v[48:49], s[16:17], v[106:107], v[68:69]
	v_add_f64 v[122:123], v[38:39], v[34:35]
	v_mul_f64 v[70:71], v[112:113], s[22:23]
	s_mov_b32 s20, 0xb2365da1
	s_mov_b32 s25, 0xbfedeba7
	s_waitcnt lgkmcnt(0)
	v_add_f64 v[120:121], v[42:43], -v[46:47]
	v_add_f64 v[0:1], v[48:49], v[0:1]
	v_fma_f64 v[48:49], v[122:123], s[16:17], -v[70:71]
	s_mov_b32 s21, 0xbfd6b1d8
	v_add_f64 v[110:111], v[40:41], v[44:45]
	v_mul_f64 v[72:73], v[120:121], s[24:25]
	v_add_f64 v[118:119], v[40:41], -v[44:45]
	v_add_f64 v[2:3], v[48:49], v[2:3]
	v_fma_f64 v[48:49], s[20:21], v[110:111], v[72:73]
	v_add_f64 v[128:129], v[42:43], v[46:47]
	v_mul_f64 v[74:75], v[118:119], s[24:25]
	v_add_f64 v[0:1], v[48:49], v[0:1]
	v_fma_f64 v[48:49], v[128:129], s[20:21], -v[74:75]
	v_add_f64 v[2:3], v[48:49], v[2:3]
	ds_read_b128 v[48:51], v132 offset:5376
	ds_read_b128 v[52:55], v132 offset:6272
	s_mov_b32 s28, 0x66966769
	s_mov_b32 s26, 0xebaa3ed8
	;; [unrolled: 1-line block ×4, first 2 shown]
	s_waitcnt lgkmcnt(0)
	v_add_f64 v[126:127], v[50:51], -v[54:55]
	v_add_f64 v[116:117], v[48:49], v[52:53]
	v_mul_f64 v[76:77], v[126:127], s[28:29]
	v_fma_f64 v[78:79], s[26:27], v[116:117], v[76:77]
	v_add_f64 v[124:125], v[48:49], -v[52:53]
	v_add_f64 v[0:1], v[78:79], v[0:1]
	v_add_f64 v[130:131], v[50:51], v[54:55]
	v_mul_f64 v[78:79], v[124:125], s[28:29]
	v_fma_f64 v[134:135], v[130:131], s[26:27], -v[78:79]
	v_add_f64 v[2:3], v[134:135], v[2:3]
	v_cmp_gt_u32_e32 vcc, 56, v80
	s_barrier
	s_and_saveexec_b64 s[12:13], vcc
	s_cbranch_execz .LBB0_21
; %bb.20:
	v_mul_f64 v[136:137], v[92:93], s[2:3]
	v_mul_f64 v[140:141], v[102:103], s[8:9]
	v_add_f64 v[58:59], v[58:59], v[136:137]
	v_mul_f64 v[144:145], v[108:109], s[10:11]
	v_add_f64 v[62:63], v[62:63], v[140:141]
	v_add_f64 v[58:59], v[14:15], v[58:59]
	v_mul_f64 v[134:135], v[84:85], s[2:3]
	v_mul_f64 v[148:149], v[122:123], s[16:17]
	v_add_f64 v[66:67], v[66:67], v[144:145]
	v_add_f64 v[58:59], v[62:63], v[58:59]
	v_mul_f64 v[138:139], v[90:91], s[8:9]
	v_mul_f64 v[152:153], v[128:129], s[20:21]
	v_add_f64 v[70:71], v[70:71], v[148:149]
	v_add_f64 v[58:59], v[66:67], v[58:59]
	v_add_f64 v[56:57], v[134:135], -v[56:57]
	v_mul_f64 v[142:143], v[96:97], s[10:11]
	v_mul_f64 v[154:155], v[116:117], s[26:27]
	;; [unrolled: 1-line block ×3, first 2 shown]
	v_add_f64 v[74:75], v[74:75], v[152:153]
	v_add_f64 v[58:59], v[70:71], v[58:59]
	v_add_f64 v[60:61], v[138:139], -v[60:61]
	v_add_f64 v[56:57], v[12:13], v[56:57]
	v_mul_f64 v[134:135], v[92:93], s[10:11]
	s_mov_b32 s41, 0x3fe5384d
	s_mov_b32 s40, s14
	v_mul_f64 v[146:147], v[106:107], s[16:17]
	v_mul_f64 v[150:151], v[110:111], s[20:21]
	v_add_f64 v[78:79], v[78:79], v[156:157]
	v_add_f64 v[58:59], v[74:75], v[58:59]
	v_add_f64 v[62:63], v[154:155], -v[76:77]
	v_add_f64 v[64:65], v[142:143], -v[64:65]
	v_add_f64 v[56:57], v[60:61], v[56:57]
	v_mul_f64 v[76:77], v[102:103], s[26:27]
	s_mov_b32 s35, 0xbfefc445
	s_mov_b32 s34, s28
	v_fma_f64 v[136:137], s[40:41], v[86:87], v[134:135]
	v_mul_f64 v[148:149], v[88:89], s[14:15]
	v_add_f64 v[58:59], v[78:79], v[58:59]
	v_add_f64 v[66:67], v[150:151], -v[72:73]
	v_add_f64 v[68:69], v[146:147], -v[68:69]
	v_add_f64 v[56:57], v[64:65], v[56:57]
	v_mul_f64 v[72:73], v[108:109], s[16:17]
	v_fma_f64 v[78:79], s[34:35], v[94:95], v[76:77]
	v_add_f64 v[136:137], v[14:15], v[136:137]
	s_mov_b32 s37, 0xbfea55e2
	s_mov_b32 s36, s22
	v_mul_f64 v[144:145], v[98:99], s[28:29]
	v_fma_f64 v[150:151], s[10:11], v[84:85], v[148:149]
	v_add_f64 v[56:57], v[68:69], v[56:57]
	v_mul_f64 v[68:69], v[122:123], s[2:3]
	v_fma_f64 v[74:75], s[22:23], v[100:101], v[72:73]
	v_add_f64 v[78:79], v[78:79], v[136:137]
	s_mov_b32 s43, 0x3fcea1e5
	s_mov_b32 s42, s6
	v_mul_f64 v[140:141], v[104:105], s[36:37]
	v_fma_f64 v[146:147], s[26:27], v[90:91], v[144:145]
	v_add_f64 v[150:151], v[12:13], v[150:151]
	v_add_f64 v[56:57], v[66:67], v[56:57]
	v_mul_f64 v[66:67], v[128:129], s[8:9]
	s_mov_b32 s31, 0xbfddbe06
	s_mov_b32 s30, s18
	v_fma_f64 v[70:71], s[6:7], v[112:113], v[68:69]
	v_add_f64 v[74:75], v[74:75], v[78:79]
	v_mul_f64 v[136:137], v[114:115], s[42:43]
	v_fma_f64 v[142:143], s[16:17], v[96:97], v[140:141]
	v_add_f64 v[146:147], v[146:147], v[150:151]
	v_add_f64 v[56:57], v[62:63], v[56:57]
	v_mul_f64 v[64:65], v[130:131], s[20:21]
	s_mov_b32 s39, 0x3fedeba7
	s_mov_b32 s38, s24
	v_fma_f64 v[62:63], s[30:31], v[118:119], v[66:67]
	v_add_f64 v[70:71], v[70:71], v[74:75]
	v_mul_f64 v[74:75], v[120:121], s[18:19]
	v_fma_f64 v[138:139], s[2:3], v[106:107], v[136:137]
	v_add_f64 v[142:143], v[142:143], v[146:147]
	v_fma_f64 v[60:61], s[38:39], v[124:125], v[64:65]
	v_add_f64 v[62:63], v[62:63], v[70:71]
	v_mul_f64 v[70:71], v[126:127], s[24:25]
	v_fma_f64 v[78:79], s[8:9], v[110:111], v[74:75]
	v_add_f64 v[138:139], v[138:139], v[142:143]
	v_add_f64 v[62:63], v[60:61], v[62:63]
	v_fma_f64 v[60:61], s[20:21], v[116:117], v[70:71]
	v_add_f64 v[78:79], v[78:79], v[138:139]
	v_fmac_f64_e32 v[134:135], s[14:15], v[86:87]
	v_add_f64 v[60:61], v[60:61], v[78:79]
	v_fmac_f64_e32 v[76:77], s[28:29], v[94:95]
	;; [unrolled: 2-line block ×5, first 2 shown]
	v_add_f64 v[68:69], v[68:69], v[72:73]
	v_fma_f64 v[76:77], v[84:85], s[10:11], -v[148:149]
	v_mul_f64 v[142:143], v[92:93], s[20:21]
	v_add_f64 v[66:67], v[66:67], v[68:69]
	v_fma_f64 v[68:69], v[110:111], s[8:9], -v[74:75]
	v_fma_f64 v[74:75], v[90:91], s[26:27], -v[144:145]
	v_add_f64 v[76:77], v[12:13], v[76:77]
	v_mul_f64 v[138:139], v[102:103], s[10:11]
	v_fma_f64 v[144:145], s[38:39], v[86:87], v[142:143]
	v_mul_f64 v[156:157], v[88:89], s[24:25]
	v_fmac_f64_e32 v[64:65], s[24:25], v[124:125]
	v_fma_f64 v[72:73], v[96:97], s[16:17], -v[140:141]
	v_add_f64 v[74:75], v[74:75], v[76:77]
	v_mul_f64 v[134:135], v[108:109], s[8:9]
	v_fma_f64 v[140:141], s[14:15], v[94:95], v[138:139]
	v_add_f64 v[144:145], v[14:15], v[144:145]
	v_mul_f64 v[152:153], v[98:99], s[40:41]
	v_fma_f64 v[158:159], s[20:21], v[84:85], v[156:157]
	v_add_f64 v[66:67], v[64:65], v[66:67]
	v_fma_f64 v[64:65], v[116:117], s[20:21], -v[70:71]
	v_fma_f64 v[70:71], v[106:107], s[2:3], -v[136:137]
	v_add_f64 v[72:73], v[72:73], v[74:75]
	v_mul_f64 v[76:77], v[122:123], s[26:27]
	v_fma_f64 v[136:137], s[30:31], v[100:101], v[134:135]
	v_add_f64 v[140:141], v[140:141], v[144:145]
	v_mul_f64 v[148:149], v[104:105], s[18:19]
	v_fma_f64 v[154:155], s[10:11], v[90:91], v[152:153]
	v_add_f64 v[158:159], v[12:13], v[158:159]
	v_add_f64 v[70:71], v[70:71], v[72:73]
	v_mul_f64 v[74:75], v[128:129], s[2:3]
	v_fma_f64 v[78:79], s[28:29], v[112:113], v[76:77]
	v_add_f64 v[136:137], v[136:137], v[140:141]
	v_mul_f64 v[144:145], v[114:115], s[34:35]
	v_fma_f64 v[150:151], s[8:9], v[96:97], v[148:149]
	v_add_f64 v[154:155], v[154:155], v[158:159]
	;; [unrolled: 7-line block ×3, first 2 shown]
	v_add_f64 v[64:65], v[64:65], v[68:69]
	v_fma_f64 v[68:69], s[36:37], v[124:125], v[72:73]
	v_add_f64 v[70:71], v[70:71], v[78:79]
	v_mul_f64 v[136:137], v[126:127], s[22:23]
	v_fma_f64 v[78:79], s[2:3], v[110:111], v[140:141]
	v_add_f64 v[146:147], v[146:147], v[150:151]
	v_add_f64 v[70:71], v[68:69], v[70:71]
	v_fma_f64 v[68:69], s[16:17], v[116:117], v[136:137]
	v_add_f64 v[78:79], v[78:79], v[146:147]
	v_fmac_f64_e32 v[142:143], s[24:25], v[86:87]
	v_add_f64 v[68:69], v[68:69], v[78:79]
	v_fmac_f64_e32 v[138:139], s[40:41], v[94:95]
	;; [unrolled: 2-line block ×6, first 2 shown]
	v_add_f64 v[74:75], v[74:75], v[76:77]
	v_fma_f64 v[138:139], v[84:85], s[20:21], -v[156:157]
	v_add_f64 v[78:79], v[72:73], v[74:75]
	v_fma_f64 v[72:73], v[116:117], s[16:17], -v[136:137]
	v_fma_f64 v[136:137], v[90:91], s[10:11], -v[152:153]
	v_add_f64 v[138:139], v[12:13], v[138:139]
	v_mul_f64 v[150:151], v[92:93], s[26:27]
	v_fma_f64 v[134:135], v[96:97], s[8:9], -v[148:149]
	v_add_f64 v[136:137], v[136:137], v[138:139]
	v_mul_f64 v[146:147], v[102:103], s[2:3]
	v_fma_f64 v[152:153], s[28:29], v[86:87], v[150:151]
	v_mul_f64 v[160:161], v[88:89], s[34:35]
	v_fma_f64 v[76:77], v[106:107], s[26:27], -v[144:145]
	v_add_f64 v[134:135], v[134:135], v[136:137]
	v_mul_f64 v[142:143], v[108:109], s[20:21]
	v_fma_f64 v[148:149], s[42:43], v[94:95], v[146:147]
	v_add_f64 v[152:153], v[14:15], v[152:153]
	v_mul_f64 v[156:157], v[98:99], s[6:7]
	v_fma_f64 v[162:163], s[26:27], v[84:85], v[160:161]
	v_fma_f64 v[74:75], v[110:111], s[2:3], -v[140:141]
	v_add_f64 v[76:77], v[76:77], v[134:135]
	v_mul_f64 v[138:139], v[122:123], s[8:9]
	v_fma_f64 v[144:145], s[24:25], v[100:101], v[142:143]
	v_add_f64 v[148:149], v[148:149], v[152:153]
	v_mul_f64 v[154:155], v[104:105], s[38:39]
	v_fma_f64 v[158:159], s[2:3], v[90:91], v[156:157]
	v_add_f64 v[162:163], v[12:13], v[162:163]
	v_add_f64 v[74:75], v[74:75], v[76:77]
	v_mul_f64 v[136:137], v[128:129], s[16:17]
	v_fma_f64 v[140:141], s[30:31], v[112:113], v[138:139]
	v_add_f64 v[144:145], v[144:145], v[148:149]
	v_mul_f64 v[152:153], v[114:115], s[18:19]
	v_add_f64 v[158:159], v[158:159], v[162:163]
	v_fma_f64 v[162:163], s[20:21], v[96:97], v[154:155]
	v_add_f64 v[76:77], v[72:73], v[74:75]
	v_mul_f64 v[134:135], v[130:131], s[10:11]
	v_fma_f64 v[74:75], s[22:23], v[118:119], v[136:137]
	v_add_f64 v[140:141], v[140:141], v[144:145]
	v_mul_f64 v[144:145], v[120:121], s[36:37]
	v_add_f64 v[158:159], v[162:163], v[158:159]
	v_fma_f64 v[162:163], s[8:9], v[106:107], v[152:153]
	v_fma_f64 v[72:73], s[40:41], v[124:125], v[134:135]
	v_add_f64 v[74:75], v[74:75], v[140:141]
	v_mul_f64 v[140:141], v[126:127], s[14:15]
	v_fma_f64 v[148:149], s[16:17], v[110:111], v[144:145]
	v_add_f64 v[158:159], v[162:163], v[158:159]
	v_add_f64 v[74:75], v[72:73], v[74:75]
	v_fma_f64 v[72:73], s[10:11], v[116:117], v[140:141]
	v_add_f64 v[148:149], v[148:149], v[158:159]
	v_fmac_f64_e32 v[150:151], s[34:35], v[86:87]
	v_add_f64 v[72:73], v[72:73], v[148:149]
	v_fmac_f64_e32 v[146:147], s[6:7], v[94:95]
	;; [unrolled: 2-line block ×5, first 2 shown]
	v_add_f64 v[138:139], v[138:139], v[142:143]
	v_fma_f64 v[146:147], v[84:85], s[26:27], -v[160:161]
	v_fmac_f64_e32 v[134:135], s[14:15], v[124:125]
	v_add_f64 v[136:137], v[136:137], v[138:139]
	v_fma_f64 v[138:139], v[110:111], s[16:17], -v[144:145]
	v_fma_f64 v[144:145], v[90:91], s[2:3], -v[156:157]
	v_add_f64 v[146:147], v[12:13], v[146:147]
	v_mul_f64 v[156:157], v[92:93], s[16:17]
	v_add_f64 v[136:137], v[134:135], v[136:137]
	v_fma_f64 v[134:135], v[116:117], s[10:11], -v[140:141]
	v_fma_f64 v[140:141], v[106:107], s[8:9], -v[152:153]
	;; [unrolled: 1-line block ×3, first 2 shown]
	v_add_f64 v[144:145], v[144:145], v[146:147]
	v_mul_f64 v[152:153], v[102:103], s[20:21]
	v_fma_f64 v[158:159], s[22:23], v[86:87], v[156:157]
	v_add_f64 v[142:143], v[142:143], v[144:145]
	v_mul_f64 v[148:149], v[108:109], s[2:3]
	v_fma_f64 v[154:155], s[38:39], v[94:95], v[152:153]
	v_add_f64 v[158:159], v[14:15], v[158:159]
	v_add_f64 v[140:141], v[140:141], v[142:143]
	v_mul_f64 v[146:147], v[122:123], s[10:11]
	v_fma_f64 v[150:151], s[42:43], v[100:101], v[148:149]
	v_add_f64 v[154:155], v[154:155], v[158:159]
	v_add_f64 v[138:139], v[138:139], v[140:141]
	v_mul_f64 v[144:145], v[128:129], s[26:27]
	v_fma_f64 v[140:141], s[14:15], v[112:113], v[146:147]
	v_add_f64 v[150:151], v[150:151], v[154:155]
	v_mul_f64 v[162:163], v[88:89], s[36:37]
	v_fmac_f64_e32 v[156:157], s[36:37], v[86:87]
	v_add_f64 v[134:135], v[134:135], v[138:139]
	v_fma_f64 v[138:139], s[34:35], v[118:119], v[144:145]
	v_add_f64 v[140:141], v[140:141], v[150:151]
	v_mul_f64 v[160:161], v[98:99], s[24:25]
	v_fma_f64 v[164:165], s[16:17], v[84:85], v[162:163]
	v_fmac_f64_e32 v[152:153], s[24:25], v[94:95]
	v_add_f64 v[156:157], v[14:15], v[156:157]
	v_add_f64 v[138:139], v[138:139], v[140:141]
	v_mul_f64 v[158:159], v[104:105], s[6:7]
	v_fma_f64 v[140:141], s[20:21], v[90:91], v[160:161]
	v_add_f64 v[164:165], v[12:13], v[164:165]
	v_fmac_f64_e32 v[148:149], s[6:7], v[100:101]
	v_add_f64 v[152:153], v[152:153], v[156:157]
	v_add_f64 v[10:11], v[14:15], v[10:11]
	;; [unrolled: 1-line block ×3, first 2 shown]
	v_mul_f64 v[154:155], v[114:115], s[40:41]
	v_add_f64 v[140:141], v[140:141], v[164:165]
	v_fma_f64 v[164:165], s[2:3], v[96:97], v[158:159]
	v_fmac_f64_e32 v[146:147], s[40:41], v[112:113]
	v_add_f64 v[148:149], v[148:149], v[152:153]
	v_add_f64 v[10:11], v[10:11], v[18:19]
	;; [unrolled: 1-line block ×4, first 2 shown]
	v_fma_f64 v[164:165], s[10:11], v[106:107], v[154:155]
	v_add_f64 v[146:147], v[146:147], v[148:149]
	v_fma_f64 v[148:149], v[106:107], s[10:11], -v[154:155]
	v_fma_f64 v[154:155], v[84:85], s[16:17], -v[162:163]
	v_add_f64 v[10:11], v[10:11], v[22:23]
	v_add_f64 v[8:9], v[8:9], v[20:21]
	v_mul_f64 v[150:151], v[120:121], s[28:29]
	v_fmac_f64_e32 v[144:145], s[28:29], v[118:119]
	v_fma_f64 v[152:153], v[90:91], s[20:21], -v[160:161]
	v_add_f64 v[154:155], v[12:13], v[154:155]
	v_mul_f64 v[92:93], v[92:93], s[8:9]
	v_add_f64 v[10:11], v[10:11], v[38:39]
	v_add_f64 v[8:9], v[8:9], v[36:37]
	;; [unrolled: 1-line block ×3, first 2 shown]
	v_fma_f64 v[164:165], s[26:27], v[110:111], v[150:151]
	v_add_f64 v[144:145], v[144:145], v[146:147]
	v_fma_f64 v[146:147], v[110:111], s[26:27], -v[150:151]
	v_fma_f64 v[150:151], v[96:97], s[2:3], -v[158:159]
	v_add_f64 v[152:153], v[152:153], v[154:155]
	v_mul_f64 v[102:103], v[102:103], s[16:17]
	v_fma_f64 v[156:157], s[18:19], v[86:87], v[92:93]
	v_add_f64 v[10:11], v[10:11], v[42:43]
	v_add_f64 v[8:9], v[8:9], v[40:41]
	;; [unrolled: 1-line block ×3, first 2 shown]
	v_mul_f64 v[108:109], v[108:109], s[26:27]
	v_fma_f64 v[154:155], s[22:23], v[94:95], v[102:103]
	v_add_f64 v[156:157], v[14:15], v[156:157]
	v_mul_f64 v[88:89], v[88:89], s[30:31]
	v_add_f64 v[10:11], v[10:11], v[50:51]
	v_add_f64 v[8:9], v[8:9], v[48:49]
	v_mul_f64 v[142:143], v[130:131], s[8:9]
	v_add_f64 v[148:149], v[148:149], v[150:151]
	v_mul_f64 v[150:151], v[122:123], s[20:21]
	v_fma_f64 v[152:153], s[28:29], v[100:101], v[108:109]
	v_add_f64 v[154:155], v[154:155], v[156:157]
	v_mul_f64 v[98:99], v[98:99], s[36:37]
	v_fma_f64 v[158:159], s[8:9], v[84:85], v[88:89]
	v_fmac_f64_e32 v[92:93], s[30:31], v[86:87]
	v_fma_f64 v[84:85], v[84:85], s[8:9], -v[88:89]
	v_add_f64 v[10:11], v[10:11], v[54:55]
	v_add_f64 v[8:9], v[8:9], v[52:53]
	;; [unrolled: 1-line block ×3, first 2 shown]
	v_fma_f64 v[140:141], s[30:31], v[124:125], v[142:143]
	v_mul_f64 v[166:167], v[126:127], s[18:19]
	v_fmac_f64_e32 v[142:143], s[18:19], v[124:125]
	v_mul_f64 v[128:129], v[128:129], s[10:11]
	v_fma_f64 v[122:123], s[38:39], v[112:113], v[150:151]
	v_add_f64 v[152:153], v[152:153], v[154:155]
	v_mul_f64 v[104:105], v[104:105], s[34:35]
	v_fma_f64 v[156:157], s[16:17], v[90:91], v[98:99]
	v_add_f64 v[158:159], v[12:13], v[158:159]
	v_fmac_f64_e32 v[102:103], s[36:37], v[94:95]
	v_add_f64 v[86:87], v[14:15], v[92:93]
	v_fma_f64 v[90:91], v[90:91], s[16:17], -v[98:99]
	v_add_f64 v[84:85], v[12:13], v[84:85]
	v_add_f64 v[10:11], v[10:11], v[46:47]
	;; [unrolled: 1-line block ×4, first 2 shown]
	v_fma_f64 v[142:143], v[116:117], s[8:9], -v[166:167]
	v_add_f64 v[146:147], v[146:147], v[148:149]
	v_mul_f64 v[130:131], v[130:131], s[2:3]
	v_fma_f64 v[148:149], s[40:41], v[118:119], v[128:129]
	v_add_f64 v[122:123], v[122:123], v[152:153]
	v_mul_f64 v[114:115], v[114:115], s[24:25]
	v_fma_f64 v[154:155], s[26:27], v[96:97], v[104:105]
	v_add_f64 v[156:157], v[156:157], v[158:159]
	v_fmac_f64_e32 v[108:109], s[34:35], v[100:101]
	v_add_f64 v[86:87], v[102:103], v[86:87]
	v_fma_f64 v[96:97], v[96:97], s[26:27], -v[104:105]
	v_add_f64 v[84:85], v[90:91], v[84:85]
	v_add_f64 v[10:11], v[10:11], v[34:35]
	v_add_f64 v[8:9], v[8:9], v[32:33]
	v_add_f64 v[142:143], v[142:143], v[146:147]
	v_fma_f64 v[146:147], s[42:43], v[124:125], v[130:131]
	v_add_f64 v[122:123], v[148:149], v[122:123]
	v_mul_f64 v[126:127], v[126:127], s[6:7]
	v_mul_f64 v[148:149], v[120:121], s[14:15]
	v_fma_f64 v[152:153], s[20:21], v[106:107], v[114:115]
	v_add_f64 v[154:155], v[154:155], v[156:157]
	v_fmac_f64_e32 v[150:151], s[24:25], v[112:113]
	v_add_f64 v[86:87], v[108:109], v[86:87]
	v_fma_f64 v[100:101], v[106:107], s[20:21], -v[114:115]
	v_add_f64 v[84:85], v[96:97], v[84:85]
	v_add_f64 v[10:11], v[10:11], v[30:31]
	;; [unrolled: 1-line block ×4, first 2 shown]
	v_fma_f64 v[146:147], s[2:3], v[116:117], v[126:127]
	v_fma_f64 v[120:121], s[10:11], v[110:111], v[148:149]
	v_add_f64 v[152:153], v[152:153], v[154:155]
	v_fmac_f64_e32 v[128:129], s[14:15], v[118:119]
	v_add_f64 v[86:87], v[150:151], v[86:87]
	v_fma_f64 v[92:93], v[116:117], s[2:3], -v[126:127]
	v_fma_f64 v[94:95], v[110:111], s[10:11], -v[148:149]
	v_add_f64 v[84:85], v[100:101], v[84:85]
	v_add_f64 v[10:11], v[10:11], v[26:27]
	;; [unrolled: 1-line block ×3, first 2 shown]
	s_movk_i32 s2, 0xc0
	v_add_f64 v[140:141], v[140:141], v[138:139]
	v_fma_f64 v[138:139], s[8:9], v[116:117], v[166:167]
	v_add_f64 v[120:121], v[120:121], v[152:153]
	v_fmac_f64_e32 v[130:131], s[6:7], v[124:125]
	v_add_f64 v[86:87], v[128:129], v[86:87]
	v_add_f64 v[84:85], v[94:95], v[84:85]
	;; [unrolled: 1-line block ×4, first 2 shown]
	v_mad_u32_u24 v8, v80, s2, v132
	v_add_f64 v[138:139], v[138:139], v[164:165]
	v_add_f64 v[120:121], v[146:147], v[120:121]
	v_add_f64 v[86:87], v[130:131], v[86:87]
	v_add_f64 v[84:85], v[92:93], v[84:85]
	ds_write_b128 v8, v[4:7]
	ds_write_b128 v8, v[84:87] offset:16
	ds_write_b128 v8, v[142:145] offset:32
	;; [unrolled: 1-line block ×12, first 2 shown]
.LBB0_21:
	s_or_b64 exec, exec, s[12:13]
	s_movk_i32 s2, 0x4f
	v_mul_lo_u16_sdwa v4, v80, s2 dst_sel:DWORD dst_unused:UNUSED_PAD src0_sel:BYTE_0 src1_sel:DWORD
	v_lshrrev_b16_e32 v68, 10, v4
	v_mul_lo_u16_e32 v4, 13, v68
	v_sub_u16_e32 v69, v80, v4
	v_mov_b32_e32 v4, 6
	v_mul_u32_u24_sdwa v4, v69, v4 dst_sel:DWORD dst_unused:UNUSED_PAD src0_sel:BYTE_0 src1_sel:DWORD
	v_lshlrev_b32_e32 v28, 4, v4
	s_waitcnt lgkmcnt(0)
	s_barrier
	global_load_dwordx4 v[4:7], v28, s[4:5]
	global_load_dwordx4 v[8:11], v28, s[4:5] offset:16
	global_load_dwordx4 v[12:15], v28, s[4:5] offset:32
	;; [unrolled: 1-line block ×5, first 2 shown]
	ds_read_b128 v[28:31], v132
	ds_read_b128 v[32:35], v132 offset:1664
	ds_read_b128 v[36:39], v132 offset:3328
	;; [unrolled: 1-line block ×6, first 2 shown]
	s_mov_b32 s8, 0xe976ee23
	s_mov_b32 s9, 0xbfe11646
	;; [unrolled: 1-line block ×6, first 2 shown]
	s_waitcnt lgkmcnt(0)
	s_barrier
	s_waitcnt vmcnt(5)
	v_mul_f64 v[56:57], v[34:35], v[6:7]
	v_mul_f64 v[6:7], v[32:33], v[6:7]
	s_waitcnt vmcnt(4)
	v_mul_f64 v[58:59], v[38:39], v[10:11]
	v_mul_f64 v[10:11], v[36:37], v[10:11]
	;; [unrolled: 3-line block ×6, first 2 shown]
	v_fma_f64 v[32:33], v[32:33], v[4:5], -v[56:57]
	v_fmac_f64_e32 v[6:7], v[34:35], v[4:5]
	v_fma_f64 v[4:5], v[36:37], v[8:9], -v[58:59]
	v_fmac_f64_e32 v[10:11], v[38:39], v[8:9]
	;; [unrolled: 2-line block ×6, first 2 shown]
	v_add_f64 v[24:25], v[32:33], v[20:21]
	v_add_f64 v[34:35], v[6:7], v[26:27]
	v_add_f64 v[6:7], v[6:7], -v[26:27]
	v_add_f64 v[26:27], v[4:5], v[16:17]
	v_add_f64 v[20:21], v[32:33], -v[20:21]
	;; [unrolled: 2-line block ×3, first 2 shown]
	v_add_f64 v[10:11], v[10:11], -v[22:23]
	v_add_f64 v[16:17], v[8:9], v[12:13]
	v_add_f64 v[22:23], v[14:15], v[18:19]
	v_add_f64 v[8:9], v[12:13], -v[8:9]
	v_add_f64 v[12:13], v[18:19], -v[14:15]
	v_add_f64 v[14:15], v[26:27], v[24:25]
	v_add_f64 v[18:19], v[32:33], v[34:35]
	;; [unrolled: 1-line block ×4, first 2 shown]
	v_add_f64 v[44:45], v[8:9], -v[4:5]
	v_add_f64 v[46:47], v[12:13], -v[10:11]
	v_add_f64 v[14:15], v[16:17], v[14:15]
	v_add_f64 v[36:37], v[26:27], -v[24:25]
	v_add_f64 v[24:25], v[24:25], -v[16:17]
	;; [unrolled: 1-line block ×5, first 2 shown]
	v_add_f64 v[16:17], v[22:23], v[18:19]
	v_add_f64 v[18:19], v[40:41], v[20:21]
	;; [unrolled: 1-line block ×3, first 2 shown]
	v_mul_f64 v[42:43], v[44:45], s[8:9]
	v_add_f64 v[4:5], v[28:29], v[14:15]
	v_mul_f64 v[28:29], v[46:47], s[8:9]
	s_mov_b32 s8, 0xaaaaaaaa
	v_add_f64 v[38:39], v[32:33], -v[34:35]
	v_add_f64 v[34:35], v[34:35], -v[22:23]
	;; [unrolled: 1-line block ×5, first 2 shown]
	v_add_f64 v[6:7], v[30:31], v[16:17]
	s_mov_b32 s9, 0xbff2aaaa
	v_mul_f64 v[22:23], v[24:25], s[6:7]
	v_mul_f64 v[24:25], v[34:35], s[6:7]
	;; [unrolled: 1-line block ×4, first 2 shown]
	v_fma_f64 v[14:15], s[8:9], v[14:15], v[4:5]
	v_fma_f64 v[16:17], s[8:9], v[16:17], v[6:7]
	s_mov_b32 s9, 0x3fe77f67
	s_mov_b32 s8, 0x5476071b
	;; [unrolled: 1-line block ×3, first 2 shown]
	v_fma_f64 v[34:35], v[36:37], s[8:9], -v[34:35]
	v_fma_f64 v[40:41], v[38:39], s[8:9], -v[40:41]
	s_mov_b32 s9, 0xbfe77f67
	s_mov_b32 s7, 0x3febfeb5
	v_fma_f64 v[26:27], s[2:3], v[26:27], v[22:23]
	v_fma_f64 v[22:23], v[36:37], s[8:9], -v[22:23]
	v_fma_f64 v[36:37], v[38:39], s[8:9], -v[24:25]
	v_fmac_f64_e32 v[24:25], s[2:3], v[32:33]
	s_mov_b32 s3, 0x3fd5d0dc
	s_mov_b32 s2, 0xb247c609
	v_mul_f64 v[30:31], v[48:49], s[6:7]
	v_mul_f64 v[44:45], v[10:11], s[6:7]
	v_fma_f64 v[32:33], s[2:3], v[8:9], v[42:43]
	v_fma_f64 v[38:39], v[48:49], s[6:7], -v[42:43]
	v_fma_f64 v[42:43], v[10:11], s[6:7], -v[28:29]
	v_fmac_f64_e32 v[28:29], s[2:3], v[12:13]
	s_mov_b32 s3, 0xbfd5d0dc
	v_fma_f64 v[30:31], v[8:9], s[2:3], -v[30:31]
	v_fma_f64 v[44:45], v[12:13], s[2:3], -v[44:45]
	s_mov_b32 s2, 0x37c3f68c
	s_mov_b32 s3, 0x3fdc38aa
	v_add_f64 v[46:47], v[26:27], v[14:15]
	v_add_f64 v[48:49], v[24:25], v[16:17]
	;; [unrolled: 1-line block ×4, first 2 shown]
	v_fmac_f64_e32 v[32:33], s[2:3], v[18:19]
	v_fmac_f64_e32 v[38:39], s[2:3], v[18:19]
	;; [unrolled: 1-line block ×3, first 2 shown]
	v_add_f64 v[24:25], v[34:35], v[14:15]
	v_add_f64 v[34:35], v[22:23], v[14:15]
	v_add_f64 v[10:11], v[48:49], -v[32:33]
	v_add_f64 v[14:15], v[36:37], -v[30:31]
	v_add_f64 v[18:19], v[38:39], v[26:27]
	v_add_f64 v[22:23], v[26:27], -v[38:39]
	v_add_f64 v[26:27], v[30:31], v[36:37]
	v_add_f64 v[30:31], v[32:33], v[48:49]
	v_mov_b32_e32 v33, 4
	v_fmac_f64_e32 v[28:29], s[2:3], v[20:21]
	v_fmac_f64_e32 v[42:43], s[2:3], v[20:21]
	;; [unrolled: 1-line block ×3, first 2 shown]
	v_mul_u32_u24_e32 v32, 0x5b0, v68
	v_lshlrev_b32_sdwa v33, v33, v69 dst_sel:DWORD dst_unused:UNUSED_PAD src0_sel:DWORD src1_sel:BYTE_0
	s_movk_i32 s2, 0x5b
	v_add_f64 v[8:9], v[28:29], v[46:47]
	v_add_f64 v[12:13], v[44:45], v[34:35]
	v_add_f64 v[16:17], v[24:25], -v[42:43]
	v_add_f64 v[20:21], v[42:43], v[24:25]
	v_add_f64 v[24:25], v[34:35], -v[44:45]
	v_add_f64 v[28:29], v[46:47], -v[28:29]
	v_add3_u32 v32, 0, v32, v33
	v_cmp_gt_u32_e32 vcc, s2, v80
	ds_write_b128 v32, v[4:7]
	ds_write_b128 v32, v[8:11] offset:208
	ds_write_b128 v32, v[12:15] offset:416
	;; [unrolled: 1-line block ×6, first 2 shown]
	s_waitcnt lgkmcnt(0)
	s_barrier
	s_and_saveexec_b64 s[2:3], vcc
	s_cbranch_execz .LBB0_23
; %bb.22:
	ds_read_b128 v[4:7], v132
	ds_read_b128 v[8:11], v132 offset:1456
	ds_read_b128 v[12:15], v132 offset:2912
	ds_read_b128 v[16:19], v132 offset:4368
	ds_read_b128 v[20:23], v132 offset:5824
	ds_read_b128 v[24:27], v132 offset:7280
	ds_read_b128 v[28:31], v132 offset:8736
	ds_read_b128 v[0:3], v132 offset:10192
.LBB0_23:
	s_or_b64 exec, exec, s[2:3]
	s_waitcnt lgkmcnt(0)
	s_barrier
	s_and_saveexec_b64 s[2:3], vcc
	s_cbranch_execz .LBB0_25
; %bb.24:
	v_add_u32_e32 v32, 0xffffffa5, v80
	v_cndmask_b32_e32 v32, v32, v80, vcc
	v_mul_i32_i24_e32 v32, 7, v32
	v_mov_b32_e32 v33, 0
	v_lshl_add_u64 v[60:61], v[32:33], 4, s[4:5]
	global_load_dwordx4 v[32:35], v[60:61], off offset:1264
	global_load_dwordx4 v[36:39], v[60:61], off offset:1328
	;; [unrolled: 1-line block ×7, first 2 shown]
	s_mov_b32 s4, 0x667f3bcd
	s_mov_b32 s5, 0x3fe6a09e
	;; [unrolled: 1-line block ×4, first 2 shown]
	s_waitcnt vmcnt(6)
	v_mul_f64 v[60:61], v[14:15], v[34:35]
	s_waitcnt vmcnt(5)
	v_mul_f64 v[62:63], v[30:31], v[38:39]
	;; [unrolled: 2-line block ×7, first 2 shown]
	v_mul_f64 v[46:47], v[8:9], v[46:47]
	v_mul_f64 v[50:51], v[24:25], v[50:51]
	;; [unrolled: 1-line block ×7, first 2 shown]
	v_fma_f64 v[12:13], v[12:13], v[32:33], -v[60:61]
	v_fma_f64 v[28:29], v[28:29], v[36:37], -v[62:63]
	v_fmac_f64_e32 v[64:65], v[22:23], v[40:41]
	v_fma_f64 v[8:9], v[8:9], v[44:45], -v[66:67]
	v_fma_f64 v[22:23], v[24:25], v[48:49], -v[68:69]
	v_fmac_f64_e32 v[70:71], v[18:19], v[52:53]
	v_fmac_f64_e32 v[72:73], v[2:3], v[56:57]
	;; [unrolled: 1-line block ×4, first 2 shown]
	v_fma_f64 v[2:3], v[16:17], v[52:53], -v[54:55]
	v_fma_f64 v[0:1], v[0:1], v[56:57], -v[58:59]
	v_fma_f64 v[10:11], v[20:21], v[40:41], -v[42:43]
	v_fmac_f64_e32 v[34:35], v[14:15], v[32:33]
	v_fmac_f64_e32 v[38:39], v[30:31], v[36:37]
	v_add_f64 v[14:15], v[12:13], -v[28:29]
	v_add_f64 v[16:17], v[6:7], -v[64:65]
	;; [unrolled: 1-line block ×8, first 2 shown]
	v_add_f64 v[26:27], v[16:17], v[14:15]
	v_add_f64 v[28:29], v[18:19], -v[20:21]
	v_add_f64 v[30:31], v[22:23], v[0:1]
	v_add_f64 v[32:33], v[10:11], -v[24:25]
	v_fma_f64 v[36:37], v[6:7], 2.0, -v[16:17]
	v_fma_f64 v[6:7], v[34:35], 2.0, -v[24:25]
	;; [unrolled: 1-line block ×8, first 2 shown]
	v_fma_f64 v[2:3], s[4:5], v[30:31], v[26:27]
	v_fma_f64 v[0:1], s[4:5], v[28:29], v[32:33]
	v_add_f64 v[20:21], v[36:37], -v[6:7]
	v_add_f64 v[14:15], v[12:13], -v[14:15]
	v_fma_f64 v[44:45], v[18:19], 2.0, -v[28:29]
	v_fma_f64 v[46:47], v[10:11], 2.0, -v[32:33]
	v_add_f64 v[40:41], v[34:35], -v[8:9]
	v_fma_f64 v[24:25], v[16:17], 2.0, -v[26:27]
	v_fma_f64 v[22:23], v[22:23], 2.0, -v[30:31]
	v_fmac_f64_e32 v[2:3], s[4:5], v[28:29]
	v_fmac_f64_e32 v[0:1], s[6:7], v[30:31]
	v_fma_f64 v[8:9], s[6:7], v[44:45], v[46:47]
	v_fma_f64 v[28:29], v[36:37], 2.0, -v[20:21]
	v_fma_f64 v[30:31], v[12:13], 2.0, -v[14:15]
	v_add_f64 v[42:43], v[38:39], -v[4:5]
	v_add_f64 v[6:7], v[20:21], v[40:41]
	v_fma_f64 v[10:11], s[6:7], v[22:23], v[24:25]
	v_fmac_f64_e32 v[8:9], s[6:7], v[22:23]
	v_add_f64 v[22:23], v[28:29], -v[30:31]
	v_fma_f64 v[18:19], v[20:21], 2.0, -v[6:7]
	v_fma_f64 v[30:31], v[28:29], 2.0, -v[22:23]
	;; [unrolled: 1-line block ×4, first 2 shown]
	v_add_f64 v[20:21], v[28:29], -v[20:21]
	v_add_f64 v[4:5], v[42:43], -v[14:15]
	v_fmac_f64_e32 v[10:11], s[4:5], v[44:45]
	v_fma_f64 v[28:29], v[28:29], 2.0, -v[20:21]
	v_fma_f64 v[14:15], v[26:27], 2.0, -v[2:3]
	;; [unrolled: 1-line block ×6, first 2 shown]
	ds_write_b128 v132, v[28:31]
	ds_write_b128 v132, v[24:27] offset:1456
	ds_write_b128 v132, v[16:19] offset:2912
	;; [unrolled: 1-line block ×7, first 2 shown]
.LBB0_25:
	s_or_b64 exec, exec, s[2:3]
	s_waitcnt lgkmcnt(0)
	s_barrier
	s_and_saveexec_b64 s[2:3], s[0:1]
	s_cbranch_execz .LBB0_27
; %bb.26:
	v_lshl_add_u32 v12, v80, 4, 0
	ds_read_b128 v[0:3], v12
	ds_read_b128 v[4:7], v12 offset:1664
	v_mov_b32_e32 v81, 0
	v_add_u32_e32 v8, 0x68, v80
	v_lshl_add_u64 v[10:11], v[80:81], 4, v[82:83]
	v_mov_b32_e32 v9, v81
	s_waitcnt lgkmcnt(1)
	global_store_dwordx4 v[10:11], v[0:3], off
	s_nop 1
	v_lshl_add_u64 v[0:1], v[8:9], 4, v[82:83]
	s_waitcnt lgkmcnt(0)
	global_store_dwordx4 v[0:1], v[4:7], off
	ds_read_b128 v[0:3], v12 offset:3328
	s_nop 0
	v_add_u32_e32 v4, 0xd0, v80
	v_mov_b32_e32 v5, v81
	v_lshl_add_u64 v[8:9], v[4:5], 4, v[82:83]
	ds_read_b128 v[4:7], v12 offset:4992
	s_waitcnt lgkmcnt(1)
	global_store_dwordx4 v[8:9], v[0:3], off
	s_nop 1
	v_add_u32_e32 v0, 0x138, v80
	v_mov_b32_e32 v1, v81
	v_lshl_add_u64 v[0:1], v[0:1], 4, v[82:83]
	s_waitcnt lgkmcnt(0)
	global_store_dwordx4 v[0:1], v[4:7], off
	ds_read_b128 v[0:3], v12 offset:6656
	s_nop 0
	v_add_u32_e32 v4, 0x1a0, v80
	v_mov_b32_e32 v5, v81
	v_lshl_add_u64 v[8:9], v[4:5], 4, v[82:83]
	ds_read_b128 v[4:7], v12 offset:8320
	s_waitcnt lgkmcnt(1)
	global_store_dwordx4 v[8:9], v[0:3], off
	ds_read_b128 v[0:3], v12 offset:9984
	v_add_u32_e32 v8, 0x208, v80
	v_mov_b32_e32 v9, v81
	v_lshl_add_u64 v[8:9], v[8:9], 4, v[82:83]
	v_add_u32_e32 v80, 0x270, v80
	s_waitcnt lgkmcnt(1)
	global_store_dwordx4 v[8:9], v[4:7], off
	s_nop 1
	v_lshl_add_u64 v[4:5], v[80:81], 4, v[82:83]
	s_waitcnt lgkmcnt(0)
	global_store_dwordx4 v[4:5], v[0:3], off
.LBB0_27:
	s_endpgm
	.section	.rodata,"a",@progbits
	.p2align	6, 0x0
	.amdhsa_kernel fft_rtc_fwd_len728_factors_13_7_8_wgs_104_tpt_104_halfLds_dp_ip_CI_unitstride_sbrr_C2R_dirReg
		.amdhsa_group_segment_fixed_size 0
		.amdhsa_private_segment_fixed_size 0
		.amdhsa_kernarg_size 88
		.amdhsa_user_sgpr_count 2
		.amdhsa_user_sgpr_dispatch_ptr 0
		.amdhsa_user_sgpr_queue_ptr 0
		.amdhsa_user_sgpr_kernarg_segment_ptr 1
		.amdhsa_user_sgpr_dispatch_id 0
		.amdhsa_user_sgpr_kernarg_preload_length 0
		.amdhsa_user_sgpr_kernarg_preload_offset 0
		.amdhsa_user_sgpr_private_segment_size 0
		.amdhsa_uses_dynamic_stack 0
		.amdhsa_enable_private_segment 0
		.amdhsa_system_sgpr_workgroup_id_x 1
		.amdhsa_system_sgpr_workgroup_id_y 0
		.amdhsa_system_sgpr_workgroup_id_z 0
		.amdhsa_system_sgpr_workgroup_info 0
		.amdhsa_system_vgpr_workitem_id 0
		.amdhsa_next_free_vgpr 168
		.amdhsa_next_free_sgpr 44
		.amdhsa_accum_offset 168
		.amdhsa_reserve_vcc 1
		.amdhsa_float_round_mode_32 0
		.amdhsa_float_round_mode_16_64 0
		.amdhsa_float_denorm_mode_32 3
		.amdhsa_float_denorm_mode_16_64 3
		.amdhsa_dx10_clamp 1
		.amdhsa_ieee_mode 1
		.amdhsa_fp16_overflow 0
		.amdhsa_tg_split 0
		.amdhsa_exception_fp_ieee_invalid_op 0
		.amdhsa_exception_fp_denorm_src 0
		.amdhsa_exception_fp_ieee_div_zero 0
		.amdhsa_exception_fp_ieee_overflow 0
		.amdhsa_exception_fp_ieee_underflow 0
		.amdhsa_exception_fp_ieee_inexact 0
		.amdhsa_exception_int_div_zero 0
	.end_amdhsa_kernel
	.text
.Lfunc_end0:
	.size	fft_rtc_fwd_len728_factors_13_7_8_wgs_104_tpt_104_halfLds_dp_ip_CI_unitstride_sbrr_C2R_dirReg, .Lfunc_end0-fft_rtc_fwd_len728_factors_13_7_8_wgs_104_tpt_104_halfLds_dp_ip_CI_unitstride_sbrr_C2R_dirReg
                                        ; -- End function
	.section	.AMDGPU.csdata,"",@progbits
; Kernel info:
; codeLenInByte = 8376
; NumSgprs: 50
; NumVgprs: 168
; NumAgprs: 0
; TotalNumVgprs: 168
; ScratchSize: 0
; MemoryBound: 0
; FloatMode: 240
; IeeeMode: 1
; LDSByteSize: 0 bytes/workgroup (compile time only)
; SGPRBlocks: 6
; VGPRBlocks: 20
; NumSGPRsForWavesPerEU: 50
; NumVGPRsForWavesPerEU: 168
; AccumOffset: 168
; Occupancy: 3
; WaveLimiterHint : 1
; COMPUTE_PGM_RSRC2:SCRATCH_EN: 0
; COMPUTE_PGM_RSRC2:USER_SGPR: 2
; COMPUTE_PGM_RSRC2:TRAP_HANDLER: 0
; COMPUTE_PGM_RSRC2:TGID_X_EN: 1
; COMPUTE_PGM_RSRC2:TGID_Y_EN: 0
; COMPUTE_PGM_RSRC2:TGID_Z_EN: 0
; COMPUTE_PGM_RSRC2:TIDIG_COMP_CNT: 0
; COMPUTE_PGM_RSRC3_GFX90A:ACCUM_OFFSET: 41
; COMPUTE_PGM_RSRC3_GFX90A:TG_SPLIT: 0
	.text
	.p2alignl 6, 3212836864
	.fill 256, 4, 3212836864
	.type	__hip_cuid_eea6e8e151eec983,@object ; @__hip_cuid_eea6e8e151eec983
	.section	.bss,"aw",@nobits
	.globl	__hip_cuid_eea6e8e151eec983
__hip_cuid_eea6e8e151eec983:
	.byte	0                               ; 0x0
	.size	__hip_cuid_eea6e8e151eec983, 1

	.ident	"AMD clang version 19.0.0git (https://github.com/RadeonOpenCompute/llvm-project roc-6.4.0 25133 c7fe45cf4b819c5991fe208aaa96edf142730f1d)"
	.section	".note.GNU-stack","",@progbits
	.addrsig
	.addrsig_sym __hip_cuid_eea6e8e151eec983
	.amdgpu_metadata
---
amdhsa.kernels:
  - .agpr_count:     0
    .args:
      - .actual_access:  read_only
        .address_space:  global
        .offset:         0
        .size:           8
        .value_kind:     global_buffer
      - .offset:         8
        .size:           8
        .value_kind:     by_value
      - .actual_access:  read_only
        .address_space:  global
        .offset:         16
        .size:           8
        .value_kind:     global_buffer
      - .actual_access:  read_only
        .address_space:  global
        .offset:         24
        .size:           8
        .value_kind:     global_buffer
      - .offset:         32
        .size:           8
        .value_kind:     by_value
      - .actual_access:  read_only
        .address_space:  global
        .offset:         40
        .size:           8
        .value_kind:     global_buffer
      - .actual_access:  read_only
        .address_space:  global
        .offset:         48
        .size:           8
        .value_kind:     global_buffer
      - .offset:         56
        .size:           4
        .value_kind:     by_value
      - .actual_access:  read_only
        .address_space:  global
        .offset:         64
        .size:           8
        .value_kind:     global_buffer
      - .actual_access:  read_only
        .address_space:  global
        .offset:         72
        .size:           8
        .value_kind:     global_buffer
      - .address_space:  global
        .offset:         80
        .size:           8
        .value_kind:     global_buffer
    .group_segment_fixed_size: 0
    .kernarg_segment_align: 8
    .kernarg_segment_size: 88
    .language:       OpenCL C
    .language_version:
      - 2
      - 0
    .max_flat_workgroup_size: 104
    .name:           fft_rtc_fwd_len728_factors_13_7_8_wgs_104_tpt_104_halfLds_dp_ip_CI_unitstride_sbrr_C2R_dirReg
    .private_segment_fixed_size: 0
    .sgpr_count:     50
    .sgpr_spill_count: 0
    .symbol:         fft_rtc_fwd_len728_factors_13_7_8_wgs_104_tpt_104_halfLds_dp_ip_CI_unitstride_sbrr_C2R_dirReg.kd
    .uniform_work_group_size: 1
    .uses_dynamic_stack: false
    .vgpr_count:     168
    .vgpr_spill_count: 0
    .wavefront_size: 64
amdhsa.target:   amdgcn-amd-amdhsa--gfx950
amdhsa.version:
  - 1
  - 2
...

	.end_amdgpu_metadata
